;; amdgpu-corpus repo=llvm/llvm-project kind=harvested arch=n/a opt=n/a
// NOTE: Assertions have been autogenerated by utils/update_mc_test_checks.py UTC_ARGS: --version 5
// RUN: not llvm-mc -triple=amdgcn -mcpu=bonaire -show-encoding %s | FileCheck -check-prefixes=GFX7 %s
// RUN: not llvm-mc -triple=amdgcn -mcpu=bonaire -show-encoding %s -filetype=null 2>&1 | FileCheck --check-prefixes=GFX7-ERR --implicit-check-not=error: %s
// RUN: not llvm-mc -triple=amdgcn -mcpu=tonga -show-encoding %s | FileCheck -check-prefixes=GFX89 %s
// RUN: not llvm-mc -triple=amdgcn -mcpu=tonga -show-encoding %s -filetype=null 2>&1 | FileCheck --check-prefixes=GFX89-ERR --implicit-check-not=error: %s
// RUN: not llvm-mc -triple=amdgcn -mcpu=tonga -show-encoding %s | %extract-encodings | llvm-mc -triple=amdgcn -mcpu=tonga -disassemble -show-encoding | FileCheck --check-prefixes=GFX89 %s
// RUN: not llvm-mc -triple=amdgcn -mcpu=gfx900 -show-encoding %s | FileCheck -check-prefixes=GFX89 %s
// RUN: not llvm-mc -triple=amdgcn -mcpu=gfx900 -show-encoding %s -filetype=null 2>&1 | FileCheck --check-prefixes=GFX89-ERR --implicit-check-not=error: %s
// RUN: not llvm-mc -triple=amdgcn -mcpu=gfx900 -show-encoding %s | %extract-encodings | llvm-mc -triple=amdgcn -mcpu=gfx900 -disassemble -show-encoding | FileCheck --check-prefixes=GFX89 %s
// RUN: not llvm-mc -triple=amdgcn -mcpu=gfx1010 -show-encoding %s | FileCheck -check-prefixes=GFX10 %s
// RUN: not llvm-mc -triple=amdgcn -mcpu=gfx1010 -show-encoding %s -filetype=null 2>&1 | FileCheck --check-prefixes=GFX10-ERR --implicit-check-not=error: %s
// RUN: not llvm-mc -triple=amdgcn -mcpu=gfx1010 -show-encoding %s | %extract-encodings | llvm-mc -triple=amdgcn -mcpu=gfx1010 -disassemble -show-encoding | FileCheck --check-prefixes=GFX10 %s
// RUN: not llvm-mc -triple=amdgcn -mcpu=gfx1100 -show-encoding %s | FileCheck -check-prefixes=GFX11 %s
// RUN: not llvm-mc -triple=amdgcn -mcpu=gfx1100 -show-encoding %s -filetype=null 2>&1 | FileCheck --check-prefixes=GFX11-ERR --implicit-check-not=error: %s
// RUN: not llvm-mc -triple=amdgcn -mcpu=gfx1100 -show-encoding %s | %extract-encodings | llvm-mc -triple=amdgcn -mcpu=gfx1100 -disassemble -show-encoding | FileCheck --check-prefixes=GFX11 %s
// RUN: llvm-mc -triple=amdgcn -mcpu=gfx1200 -show-encoding %s | FileCheck -check-prefixes=GFX12 %s
// RUN: llvm-mc -triple=amdgcn -mcpu=gfx1200 -show-encoding %s | %extract-encodings | llvm-mc -triple=amdgcn -mcpu=gfx1250 -disassemble -show-encoding | FileCheck --check-prefixes=GFX12 %s
// RUN: llvm-mc -triple=amdgcn -mcpu=gfx1250 -show-encoding %s | FileCheck -check-prefixes=GFX12 %s
// RUN: llvm-mc -triple=amdgcn -mcpu=gfx1250 -show-encoding %s | %extract-encodings | llvm-mc -triple=amdgcn -mcpu=gfx1250 -disassemble -show-encoding | FileCheck --check-prefixes=GFX12 %s

s_load_dwordx2 vcc, s[0:1], s2
// GFX10: s_load_dwordx2 vcc, s[0:1], s2          ; encoding: [0x80,0x1a,0x04,0xf4,0x00,0x00,0x00,0x04]
// GFX11: s_load_b64 vcc, s[0:1], s2              ; encoding: [0x80,0x1a,0x04,0xf4,0x00,0x00,0x00,0x04]
// GFX12: s_load_b64 vcc, s[0:1], s2 offset:0x0   ; encoding: [0x80,0x3a,0x00,0xf4,0x00,0x00,0x00,0x04]
// GFX7: s_load_dwordx2 vcc, s[0:1], s2          ; encoding: [0x02,0x00,0x75,0xc0]
// GFX89: s_load_dwordx2 vcc, s[0:1], s2          ; encoding: [0x80,0x1a,0x04,0xc0,0x02,0x00,0x00,0x00]

s_load_b96 [s104,s105,vcc_lo], s[0:1], s1
// GFX10-ERR: :[[@LINE-1]]:1: error: instruction not supported on this GPU
// GFX11-ERR: :[[@LINE-2]]:1: error: instruction not supported on this GPU
// GFX12: s_load_b96 [s104,s105,vcc_lo], s[0:1], s1 offset:0x0 ; encoding: [0x00,0xba,0x00,0xf4,0x00,0x00,0x00,0x02]
// GFX7-ERR: :[[@LINE-4]]:1: error: instruction not supported on this GPU
// GFX89-ERR: :[[@LINE-5]]:1: error: instruction not supported on this GPU

s_load_dwordx4 [s104,s105,vcc_lo,vcc_hi], s[0:1], s1
// GFX10: s_load_dwordx4 [s104,s105,vcc_lo,vcc_hi], s[0:1], s1 ; encoding: [0x00,0x1a,0x08,0xf4,0x00,0x00,0x00,0x02]
// GFX11: s_load_b128 [s104,s105,vcc_lo,vcc_hi], s[0:1], s1 ; encoding: [0x00,0x1a,0x08,0xf4,0x00,0x00,0x00,0x02]
// GFX12: s_load_b128 [s104,s105,vcc_lo,vcc_hi], s[0:1], s1 offset:0x0 ; encoding: [0x00,0x5a,0x00,0xf4,0x00,0x00,0x00,0x02]
// GFX7-ERR: :[[@LINE-4]]:17: error: s104 register not available on this GPU
// GFX89-ERR: :[[@LINE-5]]:17: error: s104 register not available on this GPU

s_load_dwordx8 [s100,s101,s102,s103,s104,s105,vcc_lo,vcc_hi], s[0:1], s1
// GFX10: s_load_dwordx8 [s100,s101,s102,s103,s104,s105,vcc_lo,vcc_hi], s[0:1], s1 ; encoding: [0x00,0x19,0x0c,0xf4,0x00,0x00,0x00,0x02]
// GFX11: s_load_b256 [s100,s101,s102,s103,s104,s105,vcc_lo,vcc_hi], s[0:1], s1 ; encoding: [0x00,0x19,0x0c,0xf4,0x00,0x00,0x00,0x02]
// GFX12: s_load_b256 [s100,s101,s102,s103,s104,s105,vcc_lo,vcc_hi], s[0:1], s1 offset:0x0 ; encoding: [0x00,0x79,0x00,0xf4,0x00,0x00,0x00,0x02]
// GFX7-ERR: :[[@LINE-4]]:37: error: s104 register not available on this GPU
// GFX89-ERR: :[[@LINE-5]]:27: error: s102 register not available on this GPU

s_load_dwordx16 [s92,s93,s94,s95,s96,s97,s98,s99,s100,s101,s102,s103,s104,s105,vcc_lo,vcc_hi], s[0:1], s1
// GFX10: s_load_dwordx16 [s92,s93,s94,s95,s96,s97,s98,s99,s100,s101,s102,s103,s104,s105,vcc_lo,vcc_hi], s[0:1], s1 ; encoding: [0x00,0x17,0x10,0xf4,0x00,0x00,0x00,0x02]
// GFX11: s_load_b512 [s92,s93,s94,s95,s96,s97,s98,s99,s100,s101,s102,s103,s104,s105,vcc_lo,vcc_hi], s[0:1], s1 ; encoding: [0x00,0x17,0x10,0xf4,0x00,0x00,0x00,0x02]
// GFX12: s_load_b512 [s92,s93,s94,s95,s96,s97,s98,s99,s100,s101,s102,s103,s104,s105,vcc_lo,vcc_hi], s[0:1], s1 offset:0x0 ; encoding: [0x00,0x97,0x00,0xf4,0x00,0x00,0x00,0x02]
// GFX7-ERR: :[[@LINE-4]]:70: error: s104 register not available on this GPU
// GFX89-ERR: :[[@LINE-5]]:60: error: s102 register not available on this GPU
